;; amdgpu-corpus repo=ROCm/rocFFT kind=compiled arch=gfx950 opt=O3
	.text
	.amdgcn_target "amdgcn-amd-amdhsa--gfx950"
	.amdhsa_code_object_version 6
	.protected	fft_rtc_back_len240_factors_8_5_6_wgs_384_tpt_48_sp_op_CI_CI_sbcc_twdbase8_3step_dirReg_intrinsicReadWrite ; -- Begin function fft_rtc_back_len240_factors_8_5_6_wgs_384_tpt_48_sp_op_CI_CI_sbcc_twdbase8_3step_dirReg_intrinsicReadWrite
	.globl	fft_rtc_back_len240_factors_8_5_6_wgs_384_tpt_48_sp_op_CI_CI_sbcc_twdbase8_3step_dirReg_intrinsicReadWrite
	.p2align	8
	.type	fft_rtc_back_len240_factors_8_5_6_wgs_384_tpt_48_sp_op_CI_CI_sbcc_twdbase8_3step_dirReg_intrinsicReadWrite,@function
fft_rtc_back_len240_factors_8_5_6_wgs_384_tpt_48_sp_op_CI_CI_sbcc_twdbase8_3step_dirReg_intrinsicReadWrite: ; @fft_rtc_back_len240_factors_8_5_6_wgs_384_tpt_48_sp_op_CI_CI_sbcc_twdbase8_3step_dirReg_intrinsicReadWrite
; %bb.0:
	s_load_dwordx4 s[20:23], s[0:1], 0x18
	s_load_dwordx2 s[30:31], s[0:1], 0x28
	s_mov_b32 s3, 0
	s_mov_b64 s[26:27], 0
	s_waitcnt lgkmcnt(0)
	s_load_dwordx2 s[28:29], s[20:21], 0x8
	s_waitcnt lgkmcnt(0)
	s_add_u32 s4, s28, -1
	s_addc_u32 s5, s29, -1
	s_lshr_b64 s[4:5], s[4:5], 3
	s_add_u32 s34, s4, 1
	s_addc_u32 s35, s5, 0
	v_mov_b64_e32 v[2:3], s[34:35]
	v_cmp_lt_u64_e32 vcc, s[2:3], v[2:3]
	s_cbranch_vccnz .LBB0_2
; %bb.1:
	v_cvt_f32_u32_e32 v1, s34
	s_sub_i32 s4, 0, s34
	s_mov_b32 s27, s3
	v_rcp_iflag_f32_e32 v1, v1
	s_nop 0
	v_mul_f32_e32 v1, 0x4f7ffffe, v1
	v_cvt_u32_f32_e32 v1, v1
	s_nop 0
	v_readfirstlane_b32 s5, v1
	s_mul_i32 s4, s4, s5
	s_mul_hi_u32 s4, s5, s4
	s_add_i32 s5, s5, s4
	s_mul_hi_u32 s4, s2, s5
	s_mul_i32 s6, s4, s34
	s_sub_i32 s6, s2, s6
	s_add_i32 s5, s4, 1
	s_sub_i32 s7, s6, s34
	s_cmp_ge_u32 s6, s34
	s_cselect_b32 s4, s5, s4
	s_cselect_b32 s6, s7, s6
	s_add_i32 s5, s4, 1
	s_cmp_ge_u32 s6, s34
	s_cselect_b32 s26, s5, s4
.LBB0_2:
	s_load_dwordx4 s[4:7], s[0:1], 0x60
	s_load_dwordx4 s[16:19], s[22:23], 0x0
	;; [unrolled: 1-line block ×3, first 2 shown]
	s_load_dwordx2 s[24:25], s[0:1], 0x0
	s_load_dwordx4 s[12:15], s[0:1], 0x8
	s_mul_i32 s0, s26, s35
	s_mul_hi_u32 s1, s26, s34
	s_add_i32 s1, s1, s0
	s_mul_i32 s0, s26, s34
	s_sub_u32 s0, s2, s0
	s_subb_u32 s1, 0, s1
	v_mov_b32_e32 v1, s0
	s_lshl_b64 s[36:37], s[0:1], 3
	v_alignbit_b32 v1, s1, v1, 29
	s_waitcnt lgkmcnt(0)
	v_mul_lo_u32 v2, s18, v1
	s_mul_hi_u32 s0, s18, s36
	v_add_u32_e32 v2, s0, v2
	s_mul_i32 s0, s19, s36
	v_add_u32_e32 v3, s0, v2
	s_mul_i32 s0, s18, s36
	v_mov_b32_e32 v2, s0
	v_mul_lo_u32 v1, s10, v1
	s_mul_hi_u32 s0, s10, s36
	v_add_u32_e32 v1, s0, v1
	s_mul_i32 s0, s11, s36
	v_add_u32_e32 v15, s0, v1
	s_mul_i32 s0, s10, s36
	v_mov_b32_e32 v14, s0
	v_cmp_lt_u64_e64 s[0:1], s[14:15], 3
	s_and_b64 vcc, exec, s[0:1]
	s_cbranch_vccnz .LBB0_11
; %bb.3:
	s_add_u32 s38, s30, 16
	s_addc_u32 s39, s31, 0
	s_add_u32 s40, s22, 16
	s_addc_u32 s41, s23, 0
	s_add_u32 s20, s20, 16
	s_addc_u32 s21, s21, 0
	s_mov_b64 s[42:43], 2
	s_mov_b32 s44, 0
	v_mov_b64_e32 v[4:5], s[14:15]
	s_branch .LBB0_5
.LBB0_4:                                ;   in Loop: Header=BB0_5 Depth=1
	s_mul_i32 s9, s46, s35
	s_mul_hi_u32 s11, s46, s34
	s_add_i32 s9, s11, s9
	s_mul_i32 s11, s47, s34
	s_add_i32 s35, s9, s11
	s_mul_i32 s9, s0, s47
	s_mul_hi_u32 s11, s0, s46
	s_add_i32 s9, s11, s9
	s_mul_i32 s11, s1, s46
	s_load_dwordx2 s[48:49], s[40:41], 0x0
	s_add_i32 s9, s9, s11
	s_mul_i32 s11, s0, s46
	s_sub_u32 s11, s26, s11
	s_subb_u32 s9, s27, s9
	s_load_dwordx2 s[26:27], s[38:39], 0x0
	s_waitcnt lgkmcnt(0)
	s_mul_i32 s17, s48, s9
	s_mul_hi_u32 s19, s48, s11
	s_add_i32 s17, s19, s17
	s_mul_i32 s19, s49, s11
	s_add_i32 s47, s17, s19
	s_mul_i32 s9, s26, s9
	s_mul_hi_u32 s17, s26, s11
	s_add_i32 s9, s17, s9
	s_mul_i32 s17, s27, s11
	s_add_i32 s27, s9, s17
	s_add_u32 s42, s42, 1
	s_addc_u32 s43, s43, 0
	s_add_u32 s38, s38, 8
	s_addc_u32 s39, s39, 0
	;; [unrolled: 2-line block ×3, first 2 shown]
	s_mul_i32 s34, s46, s34
	s_mul_i32 s46, s48, s11
	;; [unrolled: 1-line block ×3, first 2 shown]
	s_add_u32 s20, s20, 8
	v_cmp_ge_u64_e32 vcc, s[42:43], v[4:5]
	v_lshl_add_u64 v[2:3], s[46:47], 0, v[2:3]
	v_lshl_add_u64 v[14:15], s[26:27], 0, v[14:15]
	s_addc_u32 s21, s21, 0
	s_mov_b64 s[26:27], s[0:1]
	s_cbranch_vccnz .LBB0_9
.LBB0_5:                                ; =>This Inner Loop Header: Depth=1
	s_load_dwordx2 s[46:47], s[20:21], 0x0
	s_waitcnt lgkmcnt(0)
	s_or_b64 s[0:1], s[26:27], s[46:47]
	s_mov_b32 s45, s1
	s_cmp_lg_u64 s[44:45], 0
	s_cbranch_scc0 .LBB0_7
; %bb.6:                                ;   in Loop: Header=BB0_5 Depth=1
	v_cvt_f32_u32_e32 v1, s46
	v_cvt_f32_u32_e32 v6, s47
	s_sub_u32 s0, 0, s46
	s_subb_u32 s1, 0, s47
	v_fmac_f32_e32 v1, 0x4f800000, v6
	v_rcp_f32_e32 v1, v1
	s_nop 0
	v_mul_f32_e32 v1, 0x5f7ffffc, v1
	v_mul_f32_e32 v6, 0x2f800000, v1
	v_trunc_f32_e32 v6, v6
	v_fmac_f32_e32 v1, 0xcf800000, v6
	v_cvt_u32_f32_e32 v6, v6
	v_cvt_u32_f32_e32 v1, v1
	v_readfirstlane_b32 s9, v6
	v_readfirstlane_b32 s11, v1
	s_mul_i32 s17, s0, s9
	s_mul_hi_u32 s33, s0, s11
	s_mul_i32 s19, s1, s11
	s_add_i32 s17, s33, s17
	s_mul_i32 s45, s0, s11
	s_add_i32 s17, s17, s19
	s_mul_hi_u32 s19, s11, s17
	s_mul_i32 s33, s11, s17
	s_mul_hi_u32 s11, s11, s45
	s_add_u32 s11, s11, s33
	s_addc_u32 s19, 0, s19
	s_mul_hi_u32 s48, s9, s45
	s_mul_i32 s45, s9, s45
	s_add_u32 s11, s11, s45
	s_mul_hi_u32 s33, s9, s17
	s_addc_u32 s11, s19, s48
	s_addc_u32 s19, s33, 0
	s_mul_i32 s17, s9, s17
	s_add_u32 s11, s11, s17
	s_addc_u32 s17, 0, s19
	v_add_co_u32_e32 v1, vcc, s11, v1
	s_cmp_lg_u64 vcc, 0
	s_addc_u32 s9, s9, s17
	v_readfirstlane_b32 s17, v1
	s_mul_i32 s11, s0, s9
	s_mul_hi_u32 s19, s0, s17
	s_add_i32 s11, s19, s11
	s_mul_i32 s1, s1, s17
	s_add_i32 s11, s11, s1
	s_mul_i32 s0, s0, s17
	s_mul_hi_u32 s19, s9, s0
	s_mul_i32 s33, s9, s0
	s_mul_i32 s48, s17, s11
	s_mul_hi_u32 s0, s17, s0
	s_mul_hi_u32 s45, s17, s11
	s_add_u32 s0, s0, s48
	s_addc_u32 s17, 0, s45
	s_add_u32 s0, s0, s33
	s_mul_hi_u32 s1, s9, s11
	s_addc_u32 s0, s17, s19
	s_addc_u32 s1, s1, 0
	s_mul_i32 s11, s9, s11
	s_add_u32 s0, s0, s11
	s_addc_u32 s1, 0, s1
	v_add_co_u32_e32 v1, vcc, s0, v1
	s_cmp_lg_u64 vcc, 0
	s_addc_u32 s0, s9, s1
	v_readfirstlane_b32 s11, v1
	s_mul_i32 s9, s26, s0
	s_mul_hi_u32 s17, s26, s11
	s_mul_hi_u32 s1, s26, s0
	s_add_u32 s9, s17, s9
	s_addc_u32 s1, 0, s1
	s_mul_hi_u32 s19, s27, s11
	s_mul_i32 s11, s27, s11
	s_add_u32 s9, s9, s11
	s_mul_hi_u32 s17, s27, s0
	s_addc_u32 s1, s1, s19
	s_addc_u32 s9, s17, 0
	s_mul_i32 s0, s27, s0
	s_add_u32 s11, s1, s0
	s_addc_u32 s9, 0, s9
	s_mul_i32 s0, s46, s9
	s_mul_hi_u32 s1, s46, s11
	s_add_i32 s0, s1, s0
	s_mul_i32 s1, s47, s11
	s_add_i32 s17, s0, s1
	s_mul_i32 s1, s46, s11
	v_mov_b32_e32 v1, s1
	s_sub_i32 s0, s27, s17
	v_sub_co_u32_e32 v1, vcc, s26, v1
	s_cmp_lg_u64 vcc, 0
	s_subb_u32 s19, s0, s47
	v_subrev_co_u32_e64 v6, s[0:1], s46, v1
	s_cmp_lg_u64 s[0:1], 0
	s_subb_u32 s0, s19, 0
	s_cmp_ge_u32 s0, s47
	v_readfirstlane_b32 s19, v6
	s_cselect_b32 s1, -1, 0
	s_cmp_ge_u32 s19, s46
	s_cselect_b32 s19, -1, 0
	s_cmp_eq_u32 s0, s47
	s_cselect_b32 s0, s19, s1
	s_add_u32 s1, s11, 1
	s_addc_u32 s19, s9, 0
	s_add_u32 s33, s11, 2
	s_addc_u32 s45, s9, 0
	s_cmp_lg_u32 s0, 0
	s_cselect_b32 s0, s33, s1
	s_cselect_b32 s1, s45, s19
	s_cmp_lg_u64 vcc, 0
	s_subb_u32 s17, s27, s17
	s_cmp_ge_u32 s17, s47
	v_readfirstlane_b32 s33, v1
	s_cselect_b32 s19, -1, 0
	s_cmp_ge_u32 s33, s46
	s_cselect_b32 s33, -1, 0
	s_cmp_eq_u32 s17, s47
	s_cselect_b32 s17, s33, s19
	s_cmp_lg_u32 s17, 0
	s_cselect_b32 s1, s1, s9
	s_cselect_b32 s0, s0, s11
	s_cbranch_execnz .LBB0_4
	s_branch .LBB0_8
.LBB0_7:                                ;   in Loop: Header=BB0_5 Depth=1
                                        ; implicit-def: $sgpr0_sgpr1
.LBB0_8:                                ;   in Loop: Header=BB0_5 Depth=1
	v_cvt_f32_u32_e32 v1, s46
	s_sub_i32 s0, 0, s46
	v_rcp_iflag_f32_e32 v1, v1
	s_nop 0
	v_mul_f32_e32 v1, 0x4f7ffffe, v1
	v_cvt_u32_f32_e32 v1, v1
	s_nop 0
	v_readfirstlane_b32 s1, v1
	s_mul_i32 s0, s0, s1
	s_mul_hi_u32 s0, s1, s0
	s_add_i32 s1, s1, s0
	s_mul_hi_u32 s0, s26, s1
	s_mul_i32 s9, s0, s46
	s_sub_i32 s9, s26, s9
	s_add_i32 s1, s0, 1
	s_sub_i32 s11, s9, s46
	s_cmp_ge_u32 s9, s46
	s_cselect_b32 s0, s1, s0
	s_cselect_b32 s9, s11, s9
	s_add_i32 s1, s0, 1
	s_cmp_ge_u32 s9, s46
	s_cselect_b32 s0, s1, s0
	s_mov_b32 s1, s44
	s_branch .LBB0_4
.LBB0_9:
	v_mov_b64_e32 v[4:5], s[34:35]
	v_cmp_lt_u64_e32 vcc, s[2:3], v[4:5]
	s_mov_b64 s[26:27], 0
	s_cbranch_vccnz .LBB0_11
; %bb.10:
	v_cvt_f32_u32_e32 v1, s34
	s_sub_i32 s0, 0, s34
	v_rcp_iflag_f32_e32 v1, v1
	s_nop 0
	v_mul_f32_e32 v1, 0x4f7ffffe, v1
	v_cvt_u32_f32_e32 v1, v1
	s_nop 0
	v_readfirstlane_b32 s1, v1
	s_mul_i32 s0, s0, s1
	s_mul_hi_u32 s0, s1, s0
	s_add_i32 s1, s1, s0
	s_mul_hi_u32 s0, s2, s1
	s_mul_i32 s3, s0, s34
	s_sub_i32 s2, s2, s3
	s_add_i32 s1, s0, 1
	s_sub_i32 s3, s2, s34
	s_cmp_ge_u32 s2, s34
	s_cselect_b32 s0, s1, s0
	s_cselect_b32 s2, s3, s2
	s_add_i32 s1, s0, 1
	s_cmp_ge_u32 s2, s34
	s_cselect_b32 s26, s1, s0
.LBB0_11:
	s_lshl_b64 s[0:1], s[14:15], 3
	s_add_u32 s2, s22, s0
	s_addc_u32 s3, s23, s1
	s_load_dwordx2 s[2:3], s[2:3], 0x0
	v_and_b32_e32 v1, 7, v0
	v_mov_b64_e32 v[6:7], s[28:29]
	v_or_b32_e32 v16, s36, v1
	v_mov_b32_e32 v17, s37
	s_waitcnt lgkmcnt(0)
	s_mul_i32 s3, s3, s26
	s_mul_hi_u32 s9, s2, s26
	s_add_i32 s3, s9, s3
	s_add_u32 s14, s30, s0
	s_addc_u32 s15, s31, s1
	s_add_u32 s0, s36, 8
	s_mul_i32 s2, s2, s26
	s_addc_u32 s1, s37, 0
	v_lshl_add_u64 v[4:5], s[2:3], 0, v[2:3]
	v_cmp_le_u64_e32 vcc, s[0:1], v[6:7]
	v_mad_u64_u32 v[12:13], s[0:1], s18, v1, 0
	s_movk_i32 s2, 0xf0
	s_movk_i32 s0, 0xef
	v_cmp_gt_u32_e64 s[2:3], s2, v0
	v_cmp_lt_u32_e64 s[0:1], s0, v0
	s_or_b64 s[0:1], s[0:1], vcc
	v_cndmask_b32_e64 v3, 0, 1, s[2:3]
	v_cmp_gt_u64_e64 s[2:3], s[28:29], v[16:17]
	v_mov_b32_e32 v2, 0
	v_lshrrev_b32_e32 v15, 3, v0
	v_cndmask_b32_e64 v17, 0, 1, s[2:3]
	v_cndmask_b32_e64 v3, v17, v3, s[0:1]
	v_and_b32_e32 v3, 1, v3
	v_cmp_eq_u32_e64 s[0:1], 1, v3
	v_mov_b32_e32 v6, 0
	v_mov_b32_e32 v7, 0
	s_and_saveexec_b64 s[2:3], s[0:1]
	s_cbranch_execz .LBB0_13
; %bb.12:
	v_mul_lo_u32 v3, s16, v15
	v_add3_u32 v6, v4, v12, v3
	v_mov_b32_e32 v7, v2
	v_lshl_add_u64 v[6:7], v[6:7], 3, s[4:5]
	global_load_dwordx2 v[6:7], v[6:7], off
.LBB0_13:
	s_or_b64 exec, exec, s[2:3]
	v_mov_b32_e32 v3, 0
	s_and_saveexec_b64 s[2:3], s[0:1]
	s_cbranch_execz .LBB0_15
; %bb.14:
	v_add_u32_e32 v2, 30, v15
	v_mul_lo_u32 v2, s16, v2
	v_add3_u32 v2, v4, v12, v2
	v_mov_b32_e32 v3, 0
	v_lshl_add_u64 v[2:3], v[2:3], 3, s[4:5]
	global_load_dwordx2 v[2:3], v[2:3], off
.LBB0_15:
	s_or_b64 exec, exec, s[2:3]
	v_mov_b32_e32 v8, 0
	v_mov_b32_e32 v10, 0
	v_mov_b32_e32 v11, 0
	s_and_saveexec_b64 s[2:3], s[0:1]
	s_cbranch_execz .LBB0_17
; %bb.16:
	v_add_u32_e32 v5, 60, v15
	v_mul_lo_u32 v5, s16, v5
	v_add3_u32 v10, v4, v12, v5
	v_mov_b32_e32 v11, 0
	v_lshl_add_u64 v[10:11], v[10:11], 3, s[4:5]
	global_load_dwordx2 v[10:11], v[10:11], off
.LBB0_17:
	s_or_b64 exec, exec, s[2:3]
	v_mov_b32_e32 v9, 0
	s_and_saveexec_b64 s[2:3], s[0:1]
	s_cbranch_execz .LBB0_19
; %bb.18:
	v_add_u32_e32 v5, 0x5a, v15
	v_mul_lo_u32 v5, s16, v5
	v_add3_u32 v8, v4, v12, v5
	v_mov_b32_e32 v9, 0
	v_lshl_add_u64 v[8:9], v[8:9], 3, s[4:5]
	global_load_dwordx2 v[8:9], v[8:9], off
.LBB0_19:
	s_or_b64 exec, exec, s[2:3]
	v_mov_b32_e32 v18, 0
	v_mov_b32_e32 v20, 0
	v_mov_b32_e32 v21, 0
	s_and_saveexec_b64 s[2:3], s[0:1]
	s_cbranch_execz .LBB0_21
; %bb.20:
	v_add_u32_e32 v5, 0x78, v15
	v_mul_lo_u32 v5, s16, v5
	v_add3_u32 v20, v4, v12, v5
	v_mov_b32_e32 v21, 0
	v_lshl_add_u64 v[20:21], v[20:21], 3, s[4:5]
	global_load_dwordx2 v[20:21], v[20:21], off
.LBB0_21:
	;; [unrolled: 26-line block ×3, first 2 shown]
	s_or_b64 exec, exec, s[2:3]
	v_mov_b32_e32 v29, 0
	s_and_saveexec_b64 s[2:3], s[0:1]
	s_cbranch_execz .LBB0_27
; %bb.26:
	v_add_u32_e32 v5, 0xd2, v15
	v_mul_lo_u32 v5, s16, v5
	v_add3_u32 v4, v4, v12, v5
	v_mov_b32_e32 v5, 0
	v_lshl_add_u64 v[4:5], v[4:5], 3, s[4:5]
	global_load_dwordx2 v[28:29], v[4:5], off
.LBB0_27:
	s_or_b64 exec, exec, s[2:3]
	s_waitcnt vmcnt(0)
	v_pk_add_f32 v[22:23], v[6:7], v[20:21] neg_lo:[0,1] neg_hi:[0,1]
	v_pk_add_f32 v[24:25], v[10:11], v[24:25] neg_lo:[0,1] neg_hi:[0,1]
	;; [unrolled: 1-line block ×4, first 2 shown]
	v_pk_add_f32 v[12:13], v[22:23], v[24:25] op_sel:[0,1] op_sel_hi:[1,0]
	v_pk_add_f32 v[4:5], v[22:23], v[24:25] op_sel:[0,1] op_sel_hi:[1,0] neg_lo:[0,1] neg_hi:[0,1]
	v_pk_add_f32 v[20:21], v[26:27], v[28:29] op_sel:[0,1] op_sel_hi:[1,0]
	v_mov_b32_e32 v13, v5
	v_pk_add_f32 v[4:5], v[26:27], v[28:29] op_sel:[0,1] op_sel_hi:[1,0] neg_lo:[0,1] neg_hi:[0,1]
	v_pk_fma_f32 v[30:31], v[22:23], 2.0, v[12:13] op_sel_hi:[1,0,1] neg_lo:[0,0,1] neg_hi:[0,0,1]
	v_mov_b32_e32 v21, v5
	v_pk_fma_f32 v[18:19], v[26:27], 2.0, v[20:21] op_sel_hi:[1,0,1] neg_lo:[0,0,1] neg_hi:[0,0,1]
	s_mov_b32 s0, 0x3f3504f3
	v_pk_mul_f32 v[4:5], v[18:19], s[0:1] op_sel_hi:[1,0]
	v_pk_fma_f32 v[32:33], v[18:19], s[0:1], v[30:31] op_sel_hi:[1,0,1] neg_lo:[1,0,0] neg_hi:[1,0,0]
	s_movk_i32 s0, 0xef
	v_cmp_lt_u32_e64 s[0:1], s0, v0
	v_lshlrev_b32_e32 v34, 6, v15
	s_and_saveexec_b64 s[2:3], s[0:1]
	s_xor_b64 s[0:1], exec, s[2:3]
; %bb.28:
	v_lshlrev_b32_e32 v34, 6, v15
                                        ; implicit-def: $vgpr22_vgpr23
                                        ; implicit-def: $vgpr24_vgpr25
                                        ; implicit-def: $vgpr26_vgpr27
                                        ; implicit-def: $vgpr28_vgpr29
                                        ; implicit-def: $vgpr30_vgpr31
                                        ; implicit-def: $vgpr20_vgpr21
                                        ; implicit-def: $vgpr12_vgpr13
                                        ; implicit-def: $vgpr6_vgpr7
                                        ; implicit-def: $vgpr2_vgpr3
                                        ; implicit-def: $vgpr10_vgpr11
                                        ; implicit-def: $vgpr8_vgpr9
; %bb.29:
	s_or_saveexec_b64 s[0:1], s[0:1]
	v_pk_add_f32 v[18:19], v[32:33], v[4:5] op_sel:[0,1] op_sel_hi:[1,0]
	v_pk_add_f32 v[4:5], v[32:33], v[4:5] op_sel:[0,1] op_sel_hi:[1,0] neg_lo:[0,1] neg_hi:[0,1]
	s_nop 0
	v_lshlrev_b32_e32 v4, 3, v1
	s_xor_b64 exec, exec, s[0:1]
	s_cbranch_execz .LBB0_31
; %bb.30:
	v_pk_fma_f32 v[6:7], v[6:7], 2.0, v[22:23] op_sel_hi:[1,0,1] neg_lo:[0,0,1] neg_hi:[0,0,1]
	v_pk_fma_f32 v[10:11], v[10:11], 2.0, v[24:25] op_sel_hi:[1,0,1] neg_lo:[0,0,1] neg_hi:[0,0,1]
	;; [unrolled: 1-line block ×4, first 2 shown]
	v_pk_add_f32 v[10:11], v[6:7], v[10:11] neg_lo:[0,1] neg_hi:[0,1]
	v_pk_add_f32 v[8:9], v[2:3], v[8:9] neg_lo:[0,1] neg_hi:[0,1]
	v_pk_fma_f32 v[6:7], v[6:7], 2.0, v[10:11] op_sel_hi:[1,0,1] neg_lo:[0,0,1] neg_hi:[0,0,1]
	v_pk_fma_f32 v[2:3], v[2:3], 2.0, v[8:9] op_sel_hi:[1,0,1] neg_lo:[0,0,1] neg_hi:[0,0,1]
	v_mov_b32_e32 v19, v5
	v_lshlrev_b32_e32 v32, 9, v15
	v_pk_add_f32 v[2:3], v[6:7], v[2:3] neg_lo:[0,1] neg_hi:[0,1]
	v_add3_u32 v32, 0, v32, v4
	v_pk_fma_f32 v[6:7], v[6:7], 2.0, v[2:3] op_sel_hi:[1,0,1] neg_lo:[0,0,1] neg_hi:[0,0,1]
	v_pk_fma_f32 v[22:23], v[30:31], 2.0, v[18:19] op_sel_hi:[1,0,1] neg_lo:[0,0,1] neg_hi:[0,0,1]
	ds_write2_b64 v32, v[6:7], v[22:23] offset1:8
	v_pk_add_f32 v[6:7], v[10:11], v[8:9] op_sel:[0,1] op_sel_hi:[1,0]
	v_pk_add_f32 v[8:9], v[10:11], v[8:9] op_sel:[0,1] op_sel_hi:[1,0] neg_lo:[0,1] neg_hi:[0,1]
	s_mov_b32 s2, 0x3f3504f3
	v_mov_b32_e32 v7, v9
	v_pk_fma_f32 v[8:9], v[10:11], 2.0, v[6:7] op_sel_hi:[1,0,1] neg_lo:[0,0,1] neg_hi:[0,0,1]
	v_pk_mul_f32 v[10:11], v[20:21], s[2:3] op_sel_hi:[1,0]
	v_pk_fma_f32 v[20:21], v[20:21], s[2:3], v[12:13] op_sel_hi:[1,0,1]
	s_nop 0
	v_pk_add_f32 v[22:23], v[20:21], v[10:11] op_sel:[0,1] op_sel_hi:[1,0]
	v_pk_add_f32 v[10:11], v[20:21], v[10:11] op_sel:[0,1] op_sel_hi:[1,0] neg_lo:[0,1] neg_hi:[0,1]
	s_nop 0
	v_mov_b32_e32 v23, v11
	v_pk_fma_f32 v[10:11], v[12:13], 2.0, v[22:23] op_sel_hi:[1,0,1] neg_lo:[0,0,1] neg_hi:[0,0,1]
	ds_write2_b64 v32, v[8:9], v[10:11] offset0:16 offset1:24
	ds_write2_b64 v32, v[2:3], v[18:19] offset0:32 offset1:40
	ds_write2_b64 v32, v[6:7], v[22:23] offset0:48 offset1:56
.LBB0_31:
	s_or_b64 exec, exec, s[0:1]
	v_bfe_u32 v28, v0, 3, 3
	v_lshlrev_b32_e32 v2, 5, v28
	s_load_dwordx2 s[4:5], s[14:15], 0x0
	s_waitcnt lgkmcnt(0)
	s_barrier
	global_load_dwordx4 v[6:9], v2, s[24:25]
	global_load_dwordx4 v[10:13], v2, s[24:25] offset:16
	v_add3_u32 v19, 0, v34, v4
	ds_read2_b32 v[2:3], v19 offset1:1
	ds_read2st64_b64 v[20:23], v19 offset0:6 offset1:12
	ds_read2st64_b64 v[24:27], v19 offset0:18 offset1:24
	v_lshrrev_b32_e32 v29, 6, v0
	v_mul_u32_u24_e32 v29, 40, v29
	v_or_b32_e32 v28, v29, v28
	v_lshlrev_b32_e32 v28, 6, v28
	v_add3_u32 v40, 0, v28, v4
	s_waitcnt lgkmcnt(1)
	v_mov_b32_e32 v4, v23
	s_mov_b32 s0, 0x3f167918
	s_mov_b32 s1, 0x3f737871
	;; [unrolled: 1-line block ×5, first 2 shown]
	s_movk_i32 s5, 0x140
	s_waitcnt lgkmcnt(0)
	s_barrier
	s_waitcnt vmcnt(1)
	v_mov_b32_e32 v28, v9
	v_mov_b32_e32 v29, v8
	v_pk_mul_f32 v[8:9], v[8:9], v[22:23] op_sel_hi:[1,0]
	s_waitcnt vmcnt(0)
	v_pk_mul_f32 v[30:31], v[10:11], v[24:25] op_sel:[0,1]
	v_pk_mul_f32 v[32:33], v[12:13], v[26:27] op_sel:[0,1]
	;; [unrolled: 1-line block ×3, first 2 shown]
	v_pk_fma_f32 v[36:37], v[28:29], v[4:5], v[8:9]
	v_pk_fma_f32 v[8:9], v[28:29], v[22:23], v[8:9] op_sel:[0,1,0] neg_lo:[0,0,1] neg_hi:[0,0,1]
	v_pk_fma_f32 v[22:23], v[10:11], v[24:25], v[30:31] op_sel:[0,0,1] op_sel_hi:[1,1,0]
	v_pk_fma_f32 v[10:11], v[10:11], v[24:25], v[30:31] op_sel:[0,0,1] op_sel_hi:[1,0,0] neg_lo:[1,0,0] neg_hi:[1,0,0]
	v_pk_fma_f32 v[24:25], v[12:13], v[26:27], v[32:33] op_sel:[0,0,1] op_sel_hi:[1,1,0]
	v_pk_fma_f32 v[12:13], v[12:13], v[26:27], v[32:33] op_sel:[0,0,1] op_sel_hi:[1,0,0] neg_lo:[1,0,0] neg_hi:[1,0,0]
	;; [unrolled: 2-line block ×3, first 2 shown]
	v_mov_b32_e32 v37, v9
	v_mov_b32_e32 v23, v11
	;; [unrolled: 1-line block ×10, first 2 shown]
	v_pk_add_f32 v[20:21], v[6:7], v[12:13] neg_lo:[0,1] neg_hi:[0,1]
	v_pk_add_f32 v[6:7], v[36:37], v[22:23]
	v_pk_add_f32 v[12:13], v[26:27], v[36:37] neg_lo:[0,1] neg_hi:[0,1]
	v_pk_add_f32 v[28:29], v[24:25], v[22:23] neg_lo:[0,1] neg_hi:[0,1]
	v_pk_add_f32 v[30:31], v[26:27], v[2:3]
	v_pk_add_f32 v[8:9], v[8:9], v[10:11] neg_lo:[0,1] neg_hi:[0,1]
	;; [unrolled: 3-line block ×3, first 2 shown]
	v_pk_mul_f32 v[34:35], v[20:21], s[0:1]
	v_pk_fma_f32 v[38:39], v[6:7], 0.5, v[2:3] op_sel_hi:[1,0,1] neg_lo:[1,0,0] neg_hi:[1,0,0]
	v_pk_add_f32 v[28:29], v[12:13], v[28:29]
	v_pk_mul_f32 v[12:13], v[20:21], s[14:15]
	v_pk_add_f32 v[6:7], v[30:31], v[36:37]
	v_pk_mul_f32 v[30:31], v[8:9], s[0:1]
	v_pk_mul_f32 v[36:37], v[8:9], s[14:15]
	v_pk_fma_f32 v[2:3], v[26:27], 0.5, v[2:3] op_sel_hi:[1,0,1] neg_lo:[1,0,0] neg_hi:[1,0,0]
	v_pk_add_f32 v[32:33], v[32:33], v[10:11]
	v_pk_add_f32 v[6:7], v[6:7], v[22:23]
	v_mov_b32_e32 v10, v35
	v_mov_b32_e32 v11, v31
	v_pk_fma_f32 v[22:23], v[20:21], s[14:15], v[2:3]
	v_mov_b32_e32 v4, v13
	v_mov_b32_e32 v26, v3
	;; [unrolled: 1-line block ×4, first 2 shown]
	v_pk_fma_f32 v[30:31], v[20:21], s[14:15], v[2:3] neg_lo:[1,0,0] neg_hi:[1,0,0]
	v_pk_add_f32 v[6:7], v[6:7], v[24:25]
	v_pk_add_f32 v[24:25], v[38:39], v[10:11] neg_lo:[0,1] neg_hi:[0,1]
	v_pk_add_f32 v[36:37], v[38:39], v[10:11]
	v_pk_add_f32 v[10:11], v[22:23], v[4:5] neg_lo:[0,1] neg_hi:[0,1]
	v_pk_fma_f32 v[22:23], v[8:9], s[14:15], v[26:27] neg_lo:[1,0,0] neg_hi:[1,0,0]
	v_pk_add_f32 v[2:3], v[2:3], v[12:13]
	v_pk_add_f32 v[12:13], v[30:31], v[4:5]
	v_mov_b32_e32 v11, v22
	v_pk_fma_f32 v[2:3], v[8:9], s[14:15], v[2:3] neg_lo:[1,0,0] neg_hi:[1,0,0]
	v_pk_fma_f32 v[26:27], v[20:21], s[0:1], v[24:25] neg_lo:[1,0,0] neg_hi:[1,0,0]
	v_pk_add_f32 v[30:31], v[36:37], v[34:35]
	v_pk_fma_f32 v[22:23], v[8:9], s[14:15], v[10:11]
	v_mov_b32_e32 v13, v3
	v_pk_fma_f32 v[2:3], v[20:21], s[0:1], v[36:37]
	v_pk_add_f32 v[20:21], v[24:25], v[34:35] neg_lo:[0,1] neg_hi:[0,1]
	v_mov_b32_e32 v27, v31
	v_mov_b32_e32 v11, v23
	;; [unrolled: 1-line block ×3, first 2 shown]
	v_pk_fma_f32 v[8:9], v[28:29], s[2:3], v[26:27] op_sel_hi:[1,0,1]
	v_pk_fma_f32 v[10:11], v[32:33], s[2:3], v[10:11] op_sel_hi:[1,0,1]
	;; [unrolled: 1-line block ×4, first 2 shown]
	v_cmp_gt_u32_e64 s[0:1], s5, v0
	ds_write2st64_b64 v40, v[6:7], v[8:9] offset1:1
	ds_write2st64_b64 v40, v[10:11], v[12:13] offset0:2 offset1:3
	ds_write_b64 v40, v[2:3] offset:2048
	s_waitcnt lgkmcnt(0)
	s_barrier
	s_and_saveexec_b64 s[2:3], s[0:1]
	s_cbranch_execz .LBB0_33
; %bb.32:
	ds_read2st64_b64 v[6:9], v19 offset1:5
	ds_read2st64_b64 v[2:5], v19 offset0:20 offset1:25
	ds_read2st64_b64 v[10:13], v19 offset0:10 offset1:15
	s_waitcnt lgkmcnt(1)
	v_mov_b32_e32 v18, v4
.LBB0_33:
	s_or_b64 exec, exec, s[2:3]
	s_movk_i32 s0, 0x13f
	v_cmp_lt_u32_e64 s[0:1], s0, v0
	v_cmp_gt_u32_e64 s[2:3], s5, v0
	s_or_b64 vcc, s[0:1], vcc
	s_nop 0
	v_cndmask_b32_e64 v4, 0, 1, s[2:3]
	v_cndmask_b32_e32 v4, v17, v4, vcc
	v_and_b32_e32 v4, 1, v4
	v_cmp_eq_u32_e32 vcc, 1, v4
	s_and_saveexec_b64 s[0:1], vcc
	s_cbranch_execz .LBB0_35
; %bb.34:
	v_mul_lo_u16_e32 v4, 13, v15
	v_lshrrev_b16_e32 v4, 9, v4
	v_mul_lo_u16_e32 v4, 40, v4
	v_sub_u16_e32 v4, v15, v4
	v_and_b32_e32 v4, 0xff, v4
	v_add_u32_e32 v17, 0xa0, v4
	v_mov_b32_e32 v15, 3
	v_mul_lo_u32 v17, v16, v17
	v_lshlrev_b32_sdwa v19, v15, v17 dst_sel:DWORD dst_unused:UNUSED_PAD src0_sel:DWORD src1_sel:BYTE_0
	v_lshlrev_b32_sdwa v24, v15, v17 dst_sel:DWORD dst_unused:UNUSED_PAD src0_sel:DWORD src1_sel:BYTE_1
	global_load_dwordx2 v[20:21], v19, s[12:13]
	global_load_dwordx2 v[22:23], v24, s[12:13] offset:2048
	v_add_u32_e32 v19, 0xc8, v4
	v_mul_lo_u32 v19, v16, v19
	v_lshlrev_b32_sdwa v28, v15, v19 dst_sel:DWORD dst_unused:UNUSED_PAD src0_sel:DWORD src1_sel:BYTE_0
	v_lshlrev_b32_sdwa v29, v15, v19 dst_sel:DWORD dst_unused:UNUSED_PAD src0_sel:DWORD src1_sel:BYTE_1
	global_load_dwordx2 v[24:25], v28, s[12:13]
	global_load_dwordx2 v[26:27], v29, s[12:13] offset:2048
	v_add_u32_e32 v28, 0x78, v4
	v_mul_lo_u32 v36, v16, v28
	v_mov_b32_e32 v54, 0x1000
	v_bfe_u32 v17, v17, 16, 8
	v_lshlrev_b32_sdwa v32, v15, v36 dst_sel:DWORD dst_unused:UNUSED_PAD src0_sel:DWORD src1_sel:BYTE_0
	v_lshlrev_b32_sdwa v33, v15, v36 dst_sel:DWORD dst_unused:UNUSED_PAD src0_sel:DWORD src1_sel:BYTE_1
	v_lshl_or_b32 v17, v17, 3, v54
	global_load_dwordx2 v[28:29], v33, s[12:13] offset:2048
	global_load_dwordx2 v[30:31], v32, s[12:13]
	s_mul_i32 s0, s4, s26
	global_load_dwordx2 v[32:33], v17, s[12:13]
	v_bfe_u32 v17, v19, 16, 8
	v_lshl_or_b32 v17, v17, 3, v54
	global_load_dwordx2 v[34:35], v17, s[12:13]
	v_bfe_u32 v17, v36, 16, 8
	v_lshl_or_b32 v17, v17, 3, v54
	global_load_dwordx2 v[36:37], v17, s[12:13]
	v_add_u32_e32 v17, 0x50, v4
	v_mul_lo_u32 v17, v16, v17
	v_bfe_u32 v19, v17, 16, 8
	v_lshlrev_b32_sdwa v42, v15, v17 dst_sel:DWORD dst_unused:UNUSED_PAD src0_sel:DWORD src1_sel:BYTE_0
	v_lshlrev_b32_sdwa v17, v15, v17 dst_sel:DWORD dst_unused:UNUSED_PAD src0_sel:DWORD src1_sel:BYTE_1
	global_load_dwordx2 v[38:39], v42, s[12:13]
	global_load_dwordx2 v[40:41], v17, s[12:13] offset:2048
	v_lshl_or_b32 v17, v19, 3, v54
	global_load_dwordx2 v[42:43], v17, s[12:13]
	v_add_u32_e32 v17, 40, v4
	v_mul_lo_u32 v17, v16, v17
	v_lshlrev_b32_sdwa v19, v15, v17 dst_sel:DWORD dst_unused:UNUSED_PAD src0_sel:DWORD src1_sel:BYTE_0
	v_lshlrev_b32_sdwa v48, v15, v17 dst_sel:DWORD dst_unused:UNUSED_PAD src0_sel:DWORD src1_sel:BYTE_1
	v_bfe_u32 v17, v17, 16, 8
	v_lshl_or_b32 v17, v17, 3, v54
	v_mul_lo_u32 v16, v16, v4
	global_load_dwordx2 v[44:45], v19, s[12:13]
	global_load_dwordx2 v[46:47], v48, s[12:13] offset:2048
	v_add_u32_e32 v60, s0, v14
	global_load_dwordx2 v[48:49], v17, s[12:13]
	v_lshlrev_b32_sdwa v17, v15, v16 dst_sel:DWORD dst_unused:UNUSED_PAD src0_sel:DWORD src1_sel:BYTE_0
	v_lshlrev_b32_sdwa v15, v15, v16 dst_sel:DWORD dst_unused:UNUSED_PAD src0_sel:DWORD src1_sel:BYTE_1
	global_load_dwordx2 v[50:51], v17, s[12:13]
	global_load_dwordx2 v[52:53], v15, s[12:13] offset:2048
	v_bfe_u32 v15, v16, 16, 8
	v_lshl_or_b32 v15, v15, 3, v54
	global_load_dwordx2 v[54:55], v15, s[12:13]
	v_mul_u32_u24_e32 v15, 5, v4
	v_lshlrev_b32_e32 v19, 3, v15
	v_mul_u32_u24_e32 v0, 0xcd, v0
	s_movk_i32 s0, 0xf0
	v_mul_lo_u16_sdwa v0, v0, s0 dst_sel:DWORD dst_unused:UNUSED_PAD src0_sel:WORD_1 src1_sel:DWORD
	v_add_u32_e32 v61, v0, v4
	s_mov_b32 s0, 0x3f5db3d7
	s_mov_b32 s2, -0.5
	s_mov_b32 s4, 0xbf5db3d7
	s_mov_b32 s5, s2
	;; [unrolled: 1-line block ×3, first 2 shown]
	s_waitcnt vmcnt(16)
	v_mul_f32_e32 v15, v21, v23
	v_mul_f32_e32 v58, v20, v23
	v_fma_f32 v59, v20, v22, -v15
	v_fmac_f32_e32 v58, v21, v22
	global_load_dwordx4 v[20:23], v19, s[24:25] offset:256
	s_waitcnt vmcnt(15)
	v_mul_f32_e32 v14, v24, v26
	v_pk_mul_f32 v[56:57], v[24:25], v[26:27] op_sel:[1,0] op_sel_hi:[0,1]
	v_fma_f32 v26, -v25, v27, v14
	global_load_dwordx4 v[14:17], v19, s[24:25] offset:272
	global_load_dwordx2 v[24:25], v19, s[24:25] offset:288
	v_add_f32_e32 v19, v56, v57
	v_mul_lo_u32 v27, s10, v1
	s_waitcnt vmcnt(15)
	v_mul_f32_e32 v0, v30, v28
	v_fma_f32 v62, -v31, v29, v0
	v_pk_mul_f32 v[0:1], v[30:31], v[28:29] op_sel:[1,0] op_sel_hi:[0,1]
	s_waitcnt vmcnt(14)
	v_mul_f32_e32 v4, v58, v33
	v_add_f32_e32 v1, v0, v1
	s_waitcnt vmcnt(13)
	v_mul_f32_e32 v28, v19, v35
	v_fma_f32 v56, v32, v59, -v4
	v_mul_f32_e32 v0, v26, v35
	v_fma_f32 v4, v34, v26, -v28
	s_waitcnt vmcnt(12)
	v_mul_f32_e32 v28, v62, v37
	v_mul_f32_e32 v30, v1, v37
	v_fmac_f32_e32 v0, v34, v19
	v_fmac_f32_e32 v28, v36, v1
	v_mul_f32_e32 v29, v59, v33
	s_waitcnt vmcnt(10)
	v_mul_f32_e32 v1, v39, v41
	v_mul_f32_e32 v19, v38, v41
	v_fma_f32 v1, v38, v40, -v1
	v_fmac_f32_e32 v19, v39, v40
	v_fmac_f32_e32 v29, v32, v58
	v_fma_f32 v26, v36, v62, -v30
	s_waitcnt vmcnt(9)
	v_mul_f32_e32 v30, v19, v43
	v_mul_f32_e32 v58, v1, v43
	v_fma_f32 v57, v42, v1, -v30
	v_fmac_f32_e32 v58, v42, v19
	s_waitcnt vmcnt(7)
	v_mul_f32_e32 v1, v45, v47
	v_mul_f32_e32 v19, v44, v47
	v_fma_f32 v1, v44, v46, -v1
	v_fmac_f32_e32 v19, v45, v46
	s_waitcnt vmcnt(6)
	v_mul_f32_e32 v30, v19, v49
	v_mul_f32_e32 v49, v1, v49
	s_waitcnt lgkmcnt(0)
	v_mov_b32_e32 v42, v11
	v_fma_f32 v59, v48, v1, -v30
	v_fmac_f32_e32 v49, v48, v19
	v_mul_lo_u32 v1, s8, v61
	s_waitcnt vmcnt(4)
	v_mul_f32_e32 v19, v50, v53
	v_add3_u32 v30, v27, v1, v60
	v_mov_b32_e32 v31, 0
	v_mul_f32_e32 v1, v51, v53
	v_fmac_f32_e32 v19, v52, v51
	v_lshl_add_u64 v[32:33], v[30:31], 3, s[6:7]
	v_fma_f32 v1, v50, v52, -v1
	s_waitcnt vmcnt(3)
	v_mul_f32_e32 v30, v55, v19
	v_fma_f32 v48, v54, v1, -v30
	v_mul_f32_e32 v50, v55, v1
	v_add_u32_e32 v1, 40, v61
	v_mul_lo_u32 v1, s8, v1
	v_add3_u32 v30, v27, v1, v60
	v_add_u32_e32 v1, 0x50, v61
	v_mul_lo_u32 v1, s8, v1
	v_lshl_add_u64 v[34:35], v[30:31], 3, s[6:7]
	v_add3_u32 v30, v27, v1, v60
	v_add_u32_e32 v1, 0x78, v61
	v_mul_lo_u32 v1, s8, v1
	v_lshl_add_u64 v[36:37], v[30:31], 3, s[6:7]
	v_add3_u32 v30, v27, v1, v60
	v_add_u32_e32 v1, 0xa0, v61
	v_mul_lo_u32 v1, s8, v1
	v_lshl_add_u64 v[38:39], v[30:31], 3, s[6:7]
	v_add3_u32 v30, v27, v1, v60
	v_add_u32_e32 v1, 0xc8, v61
	v_fmac_f32_e32 v50, v54, v19
	v_mul_lo_u32 v1, s8, v1
	v_lshl_add_u64 v[40:41], v[30:31], 3, s[6:7]
	v_add3_u32 v30, v27, v1, v60
	v_lshl_add_u64 v[30:31], v[30:31], 3, s[6:7]
	s_waitcnt vmcnt(2)
	v_pk_mul_f32 v[42:43], v[42:43], v[22:23] op_sel_hi:[0,1]
	v_pk_fma_f32 v[44:45], v[10:11], v[22:23], v[42:43] op_sel:[0,0,1] op_sel_hi:[1,1,0]
	v_pk_fma_f32 v[10:11], v[10:11], v[22:23], v[42:43] op_sel:[0,0,1] op_sel_hi:[0,1,0] neg_lo:[1,0,0] neg_hi:[1,0,0]
	v_mov_b32_e32 v10, v3
	v_mov_b32_e32 v45, v11
	s_waitcnt vmcnt(1)
	v_pk_mul_f32 v[10:11], v[10:11], v[16:17] op_sel_hi:[0,1]
	v_pk_fma_f32 v[22:23], v[2:3], v[16:17], v[10:11] op_sel:[0,0,1] op_sel_hi:[1,1,0]
	v_pk_fma_f32 v[2:3], v[2:3], v[16:17], v[10:11] op_sel:[0,0,1] op_sel_hi:[0,1,0] neg_lo:[1,0,0] neg_hi:[1,0,0]
	v_mov_b32_e32 v2, v13
	v_mov_b32_e32 v23, v3
	v_pk_mul_f32 v[2:3], v[2:3], v[14:15] op_sel_hi:[0,1]
	v_pk_fma_f32 v[10:11], v[12:13], v[14:15], v[2:3] op_sel:[0,0,1] op_sel_hi:[1,1,0]
	v_pk_fma_f32 v[2:3], v[12:13], v[14:15], v[2:3] op_sel:[0,0,1] op_sel_hi:[0,1,0] neg_lo:[1,0,0] neg_hi:[1,0,0]
	v_pk_add_f32 v[12:13], v[44:45], v[22:23] neg_lo:[0,1] neg_hi:[0,1]
	v_pk_add_f32 v[14:15], v[44:45], v[22:23]
	v_pk_mul_f32 v[12:13], v[12:13], s[0:1] op_sel_hi:[1,0]
	v_pk_fma_f32 v[14:15], -0.5, v[14:15], v[6:7] op_sel_hi:[0,1,1]
	v_mov_b32_e32 v2, v5
	v_pk_add_f32 v[16:17], v[14:15], v[12:13] op_sel:[0,1] op_sel_hi:[1,0]
	v_mov_b32_e32 v11, v3
	s_waitcnt vmcnt(0)
	v_pk_mul_f32 v[2:3], v[2:3], v[24:25] op_sel_hi:[0,1]
	v_pk_add_f32 v[12:13], v[14:15], v[12:13] op_sel:[0,1] op_sel_hi:[1,0] neg_lo:[0,1] neg_hi:[0,1]
	v_mov_b32_e32 v14, v16
	v_pk_fma_f32 v[42:43], v[18:19], v[24:25], v[2:3] op_sel:[0,0,1] op_sel_hi:[1,1,0]
	v_pk_fma_f32 v[2:3], v[18:19], v[24:25], v[2:3] op_sel:[0,0,1] op_sel_hi:[0,1,0] neg_lo:[1,0,0] neg_hi:[1,0,0]
	v_mov_b32_e32 v16, v9
	v_mov_b32_e32 v43, v3
	v_pk_mul_f32 v[24:25], v[16:17], v[20:21] op_sel_hi:[0,1]
	v_pk_add_f32 v[18:19], v[10:11], v[42:43]
	v_pk_fma_f32 v[46:47], v[8:9], v[20:21], v[24:25] op_sel:[0,0,1] op_sel_hi:[0,1,0]
	v_pk_fma_f32 v[8:9], v[8:9], v[20:21], v[24:25] op_sel:[0,0,1] op_sel_hi:[0,1,0] neg_lo:[1,0,0] neg_hi:[1,0,0]
	v_pk_add_f32 v[2:3], v[10:11], v[42:43] neg_lo:[0,1] neg_hi:[0,1]
	v_mov_b32_e32 v47, v9
	v_mov_b32_e32 v1, v46
	v_fmac_f32_e32 v9, -0.5, v19
	v_fmac_f32_e32 v1, -0.5, v18
	v_fmamk_f32 v16, v2, 0xbf5db3d7, v9
	v_fmamk_f32 v8, v3, 0x3f5db3d7, v1
	v_fmac_f32_e32 v1, 0xbf5db3d7, v3
	v_fmac_f32_e32 v9, 0x3f5db3d7, v2
	v_pk_add_f32 v[2:3], v[46:47], v[10:11]
	v_pk_mul_f32 v[10:11], v[16:17], s[4:5] op_sel_hi:[0,1]
	v_mov_b32_e32 v15, v13
	v_mul_f32_e32 v13, 0.5, v9
	v_mul_f32_e32 v24, 0xbf5db3d7, v9
	v_pk_fma_f32 v[8:9], v[8:9], s[2:3], v[10:11] op_sel_hi:[0,1,1]
	v_pk_add_f32 v[10:11], v[14:15], v[8:9] neg_lo:[0,1] neg_hi:[0,1]
	v_fmac_f32_e32 v13, 0x3f5db3d7, v1
	v_fmac_f32_e32 v24, 0.5, v1
	v_pk_mul_f32 v[0:1], v[10:11], v[0:1] op_sel_hi:[1,0]
	v_pk_add_f32 v[6:7], v[6:7], v[44:45]
	v_pk_fma_f32 v[18:19], v[10:11], v[4:5], v[0:1] op_sel:[0,0,1] op_sel_hi:[1,1,0]
	v_pk_fma_f32 v[0:1], v[10:11], v[4:5], v[0:1] op_sel:[0,0,1] op_sel_hi:[1,0,0] neg_lo:[0,0,1] neg_hi:[0,0,1]
	v_sub_f32_e32 v10, v12, v24
	v_sub_f32_e32 v0, v17, v13
	v_mul_f32_e32 v4, v10, v29
	v_pk_add_f32 v[2:3], v[2:3], v[42:43]
	v_fma_f32 v5, v0, v56, -v4
	v_mul_f32_e32 v4, v0, v29
	v_pk_add_f32 v[6:7], v[6:7], v[22:23]
	v_fmac_f32_e32 v4, v10, v56
	v_pk_add_f32 v[10:11], v[6:7], v[2:3] neg_lo:[0,1] neg_hi:[0,1]
	v_pk_add_f32 v[8:9], v[14:15], v[8:9]
	v_pk_mul_f32 v[20:21], v[10:11], v[28:29] op_sel_hi:[1,0]
	v_mul_f32_e32 v0, v8, v58
	v_pk_fma_f32 v[22:23], v[10:11], v[26:27], v[20:21] op_sel:[0,0,1] op_sel_hi:[1,1,0]
	v_pk_fma_f32 v[10:11], v[10:11], v[26:27], v[20:21] op_sel:[0,0,1] op_sel_hi:[1,0,0] neg_lo:[0,0,1] neg_hi:[0,0,1]
	v_mul_f32_e32 v14, v9, v58
	v_add_f32_e32 v10, v12, v24
	v_fma_f32 v15, v9, v57, -v0
	v_fmac_f32_e32 v14, v8, v57
	v_add_f32_e32 v0, v17, v13
	v_mul_f32_e32 v8, v49, v10
	v_pk_add_f32 v[2:3], v[6:7], v[2:3]
	v_fma_f32 v9, v59, v0, -v8
	v_mul_f32_e32 v8, v49, v0
	v_mul_f32_e32 v0, v2, v50
	;; [unrolled: 1-line block ×3, first 2 shown]
	v_fma_f32 v7, v3, v48, -v0
	v_fmac_f32_e32 v6, v2, v48
	v_mov_b32_e32 v23, v11
	v_mov_b32_e32 v19, v1
	v_fmac_f32_e32 v8, v59, v10
	global_store_dwordx2 v[32:33], v[6:7], off
	global_store_dwordx2 v[34:35], v[8:9], off
	;; [unrolled: 1-line block ×6, first 2 shown]
.LBB0_35:
	s_endpgm
	.section	.rodata,"a",@progbits
	.p2align	6, 0x0
	.amdhsa_kernel fft_rtc_back_len240_factors_8_5_6_wgs_384_tpt_48_sp_op_CI_CI_sbcc_twdbase8_3step_dirReg_intrinsicReadWrite
		.amdhsa_group_segment_fixed_size 0
		.amdhsa_private_segment_fixed_size 0
		.amdhsa_kernarg_size 112
		.amdhsa_user_sgpr_count 2
		.amdhsa_user_sgpr_dispatch_ptr 0
		.amdhsa_user_sgpr_queue_ptr 0
		.amdhsa_user_sgpr_kernarg_segment_ptr 1
		.amdhsa_user_sgpr_dispatch_id 0
		.amdhsa_user_sgpr_kernarg_preload_length 0
		.amdhsa_user_sgpr_kernarg_preload_offset 0
		.amdhsa_user_sgpr_private_segment_size 0
		.amdhsa_uses_dynamic_stack 0
		.amdhsa_enable_private_segment 0
		.amdhsa_system_sgpr_workgroup_id_x 1
		.amdhsa_system_sgpr_workgroup_id_y 0
		.amdhsa_system_sgpr_workgroup_id_z 0
		.amdhsa_system_sgpr_workgroup_info 0
		.amdhsa_system_vgpr_workitem_id 0
		.amdhsa_next_free_vgpr 63
		.amdhsa_next_free_sgpr 50
		.amdhsa_accum_offset 64
		.amdhsa_reserve_vcc 1
		.amdhsa_float_round_mode_32 0
		.amdhsa_float_round_mode_16_64 0
		.amdhsa_float_denorm_mode_32 3
		.amdhsa_float_denorm_mode_16_64 3
		.amdhsa_dx10_clamp 1
		.amdhsa_ieee_mode 1
		.amdhsa_fp16_overflow 0
		.amdhsa_tg_split 0
		.amdhsa_exception_fp_ieee_invalid_op 0
		.amdhsa_exception_fp_denorm_src 0
		.amdhsa_exception_fp_ieee_div_zero 0
		.amdhsa_exception_fp_ieee_overflow 0
		.amdhsa_exception_fp_ieee_underflow 0
		.amdhsa_exception_fp_ieee_inexact 0
		.amdhsa_exception_int_div_zero 0
	.end_amdhsa_kernel
	.text
.Lfunc_end0:
	.size	fft_rtc_back_len240_factors_8_5_6_wgs_384_tpt_48_sp_op_CI_CI_sbcc_twdbase8_3step_dirReg_intrinsicReadWrite, .Lfunc_end0-fft_rtc_back_len240_factors_8_5_6_wgs_384_tpt_48_sp_op_CI_CI_sbcc_twdbase8_3step_dirReg_intrinsicReadWrite
                                        ; -- End function
	.section	.AMDGPU.csdata,"",@progbits
; Kernel info:
; codeLenInByte = 4788
; NumSgprs: 56
; NumVgprs: 63
; NumAgprs: 0
; TotalNumVgprs: 63
; ScratchSize: 0
; MemoryBound: 0
; FloatMode: 240
; IeeeMode: 1
; LDSByteSize: 0 bytes/workgroup (compile time only)
; SGPRBlocks: 6
; VGPRBlocks: 7
; NumSGPRsForWavesPerEU: 56
; NumVGPRsForWavesPerEU: 63
; AccumOffset: 64
; Occupancy: 8
; WaveLimiterHint : 1
; COMPUTE_PGM_RSRC2:SCRATCH_EN: 0
; COMPUTE_PGM_RSRC2:USER_SGPR: 2
; COMPUTE_PGM_RSRC2:TRAP_HANDLER: 0
; COMPUTE_PGM_RSRC2:TGID_X_EN: 1
; COMPUTE_PGM_RSRC2:TGID_Y_EN: 0
; COMPUTE_PGM_RSRC2:TGID_Z_EN: 0
; COMPUTE_PGM_RSRC2:TIDIG_COMP_CNT: 0
; COMPUTE_PGM_RSRC3_GFX90A:ACCUM_OFFSET: 15
; COMPUTE_PGM_RSRC3_GFX90A:TG_SPLIT: 0
	.text
	.p2alignl 6, 3212836864
	.fill 256, 4, 3212836864
	.type	__hip_cuid_9ade1a3d5791b867,@object ; @__hip_cuid_9ade1a3d5791b867
	.section	.bss,"aw",@nobits
	.globl	__hip_cuid_9ade1a3d5791b867
__hip_cuid_9ade1a3d5791b867:
	.byte	0                               ; 0x0
	.size	__hip_cuid_9ade1a3d5791b867, 1

	.ident	"AMD clang version 19.0.0git (https://github.com/RadeonOpenCompute/llvm-project roc-6.4.0 25133 c7fe45cf4b819c5991fe208aaa96edf142730f1d)"
	.section	".note.GNU-stack","",@progbits
	.addrsig
	.addrsig_sym __hip_cuid_9ade1a3d5791b867
	.amdgpu_metadata
---
amdhsa.kernels:
  - .agpr_count:     0
    .args:
      - .actual_access:  read_only
        .address_space:  global
        .offset:         0
        .size:           8
        .value_kind:     global_buffer
      - .address_space:  global
        .offset:         8
        .size:           8
        .value_kind:     global_buffer
      - .offset:         16
        .size:           8
        .value_kind:     by_value
      - .actual_access:  read_only
        .address_space:  global
        .offset:         24
        .size:           8
        .value_kind:     global_buffer
      - .actual_access:  read_only
        .address_space:  global
        .offset:         32
        .size:           8
        .value_kind:     global_buffer
      - .actual_access:  read_only
        .address_space:  global
        .offset:         40
        .size:           8
        .value_kind:     global_buffer
      - .offset:         48
        .size:           8
        .value_kind:     by_value
      - .actual_access:  read_only
        .address_space:  global
        .offset:         56
        .size:           8
        .value_kind:     global_buffer
      - .actual_access:  read_only
        .address_space:  global
        .offset:         64
        .size:           8
        .value_kind:     global_buffer
      - .offset:         72
        .size:           4
        .value_kind:     by_value
      - .actual_access:  read_only
        .address_space:  global
        .offset:         80
        .size:           8
        .value_kind:     global_buffer
      - .actual_access:  read_only
        .address_space:  global
        .offset:         88
        .size:           8
        .value_kind:     global_buffer
      - .actual_access:  read_only
        .address_space:  global
        .offset:         96
        .size:           8
        .value_kind:     global_buffer
      - .actual_access:  write_only
        .address_space:  global
        .offset:         104
        .size:           8
        .value_kind:     global_buffer
    .group_segment_fixed_size: 0
    .kernarg_segment_align: 8
    .kernarg_segment_size: 112
    .language:       OpenCL C
    .language_version:
      - 2
      - 0
    .max_flat_workgroup_size: 384
    .name:           fft_rtc_back_len240_factors_8_5_6_wgs_384_tpt_48_sp_op_CI_CI_sbcc_twdbase8_3step_dirReg_intrinsicReadWrite
    .private_segment_fixed_size: 0
    .sgpr_count:     56
    .sgpr_spill_count: 0
    .symbol:         fft_rtc_back_len240_factors_8_5_6_wgs_384_tpt_48_sp_op_CI_CI_sbcc_twdbase8_3step_dirReg_intrinsicReadWrite.kd
    .uniform_work_group_size: 1
    .uses_dynamic_stack: false
    .vgpr_count:     63
    .vgpr_spill_count: 0
    .wavefront_size: 64
amdhsa.target:   amdgcn-amd-amdhsa--gfx950
amdhsa.version:
  - 1
  - 2
...

	.end_amdgpu_metadata
